;; amdgpu-corpus repo=ROCm/rocFFT kind=compiled arch=gfx1030 opt=O3
	.text
	.amdgcn_target "amdgcn-amd-amdhsa--gfx1030"
	.amdhsa_code_object_version 6
	.protected	fft_rtc_fwd_len936_factors_2_2_13_2_3_3_wgs_234_tpt_78_halfLds_dp_ip_CI_unitstride_sbrr_R2C_dirReg ; -- Begin function fft_rtc_fwd_len936_factors_2_2_13_2_3_3_wgs_234_tpt_78_halfLds_dp_ip_CI_unitstride_sbrr_R2C_dirReg
	.globl	fft_rtc_fwd_len936_factors_2_2_13_2_3_3_wgs_234_tpt_78_halfLds_dp_ip_CI_unitstride_sbrr_R2C_dirReg
	.p2align	8
	.type	fft_rtc_fwd_len936_factors_2_2_13_2_3_3_wgs_234_tpt_78_halfLds_dp_ip_CI_unitstride_sbrr_R2C_dirReg,@function
fft_rtc_fwd_len936_factors_2_2_13_2_3_3_wgs_234_tpt_78_halfLds_dp_ip_CI_unitstride_sbrr_R2C_dirReg: ; @fft_rtc_fwd_len936_factors_2_2_13_2_3_3_wgs_234_tpt_78_halfLds_dp_ip_CI_unitstride_sbrr_R2C_dirReg
; %bb.0:
	s_load_dwordx4 s[8:11], s[4:5], 0x0
	v_mul_u32_u24_e32 v1, 0x349, v0
	s_clause 0x1
	s_load_dwordx2 s[2:3], s[4:5], 0x50
	s_load_dwordx2 s[12:13], s[4:5], 0x18
	v_mov_b32_e32 v5, 0
	v_mov_b32_e32 v3, 0
	;; [unrolled: 1-line block ×3, first 2 shown]
	v_lshrrev_b32_e32 v1, 16, v1
	v_mad_u64_u32 v[1:2], null, s6, 3, v[1:2]
	v_mov_b32_e32 v2, v5
	v_mov_b32_e32 v10, v2
	;; [unrolled: 1-line block ×3, first 2 shown]
	s_waitcnt lgkmcnt(0)
	v_cmp_lt_u64_e64 s0, s[10:11], 2
	s_and_b32 vcc_lo, exec_lo, s0
	s_cbranch_vccnz .LBB0_8
; %bb.1:
	s_load_dwordx2 s[0:1], s[4:5], 0x10
	v_mov_b32_e32 v3, 0
	v_mov_b32_e32 v8, v2
	s_add_u32 s6, s12, 8
	v_mov_b32_e32 v4, 0
	v_mov_b32_e32 v7, v1
	s_addc_u32 s7, s13, 0
	s_mov_b64 s[16:17], 1
	s_waitcnt lgkmcnt(0)
	s_add_u32 s14, s0, 8
	s_addc_u32 s15, s1, 0
.LBB0_2:                                ; =>This Inner Loop Header: Depth=1
	s_load_dwordx2 s[18:19], s[14:15], 0x0
                                        ; implicit-def: $vgpr9_vgpr10
	s_mov_b32 s0, exec_lo
	s_waitcnt lgkmcnt(0)
	v_or_b32_e32 v6, s19, v8
	v_cmpx_ne_u64_e32 0, v[5:6]
	s_xor_b32 s1, exec_lo, s0
	s_cbranch_execz .LBB0_4
; %bb.3:                                ;   in Loop: Header=BB0_2 Depth=1
	v_cvt_f32_u32_e32 v2, s18
	v_cvt_f32_u32_e32 v6, s19
	s_sub_u32 s0, 0, s18
	s_subb_u32 s20, 0, s19
	v_fmac_f32_e32 v2, 0x4f800000, v6
	v_rcp_f32_e32 v2, v2
	v_mul_f32_e32 v2, 0x5f7ffffc, v2
	v_mul_f32_e32 v6, 0x2f800000, v2
	v_trunc_f32_e32 v6, v6
	v_fmac_f32_e32 v2, 0xcf800000, v6
	v_cvt_u32_f32_e32 v6, v6
	v_cvt_u32_f32_e32 v2, v2
	v_mul_lo_u32 v9, s0, v6
	v_mul_hi_u32 v10, s0, v2
	v_mul_lo_u32 v11, s20, v2
	v_add_nc_u32_e32 v9, v10, v9
	v_mul_lo_u32 v10, s0, v2
	v_add_nc_u32_e32 v9, v9, v11
	v_mul_hi_u32 v11, v2, v10
	v_mul_lo_u32 v12, v2, v9
	v_mul_hi_u32 v13, v2, v9
	v_mul_hi_u32 v14, v6, v10
	v_mul_lo_u32 v10, v6, v10
	v_mul_hi_u32 v15, v6, v9
	v_mul_lo_u32 v9, v6, v9
	v_add_co_u32 v11, vcc_lo, v11, v12
	v_add_co_ci_u32_e32 v12, vcc_lo, 0, v13, vcc_lo
	v_add_co_u32 v10, vcc_lo, v11, v10
	v_add_co_ci_u32_e32 v10, vcc_lo, v12, v14, vcc_lo
	v_add_co_ci_u32_e32 v11, vcc_lo, 0, v15, vcc_lo
	v_add_co_u32 v9, vcc_lo, v10, v9
	v_add_co_ci_u32_e32 v10, vcc_lo, 0, v11, vcc_lo
	v_add_co_u32 v2, vcc_lo, v2, v9
	v_add_co_ci_u32_e32 v6, vcc_lo, v6, v10, vcc_lo
	v_mul_hi_u32 v9, s0, v2
	v_mul_lo_u32 v11, s20, v2
	v_mul_lo_u32 v10, s0, v6
	v_add_nc_u32_e32 v9, v9, v10
	v_mul_lo_u32 v10, s0, v2
	v_add_nc_u32_e32 v9, v9, v11
	v_mul_hi_u32 v11, v2, v10
	v_mul_lo_u32 v12, v2, v9
	v_mul_hi_u32 v13, v2, v9
	v_mul_hi_u32 v14, v6, v10
	v_mul_lo_u32 v10, v6, v10
	v_mul_hi_u32 v15, v6, v9
	v_mul_lo_u32 v9, v6, v9
	v_add_co_u32 v11, vcc_lo, v11, v12
	v_add_co_ci_u32_e32 v12, vcc_lo, 0, v13, vcc_lo
	v_add_co_u32 v10, vcc_lo, v11, v10
	v_add_co_ci_u32_e32 v10, vcc_lo, v12, v14, vcc_lo
	v_add_co_ci_u32_e32 v11, vcc_lo, 0, v15, vcc_lo
	v_add_co_u32 v9, vcc_lo, v10, v9
	v_add_co_ci_u32_e32 v10, vcc_lo, 0, v11, vcc_lo
	v_add_co_u32 v2, vcc_lo, v2, v9
	v_add_co_ci_u32_e32 v6, vcc_lo, v6, v10, vcc_lo
	v_mul_hi_u32 v15, v7, v2
	v_mad_u64_u32 v[11:12], null, v8, v2, 0
	v_mad_u64_u32 v[9:10], null, v7, v6, 0
	v_mad_u64_u32 v[13:14], null, v8, v6, 0
	v_add_co_u32 v2, vcc_lo, v15, v9
	v_add_co_ci_u32_e32 v6, vcc_lo, 0, v10, vcc_lo
	v_add_co_u32 v2, vcc_lo, v2, v11
	v_add_co_ci_u32_e32 v2, vcc_lo, v6, v12, vcc_lo
	v_add_co_ci_u32_e32 v6, vcc_lo, 0, v14, vcc_lo
	v_add_co_u32 v2, vcc_lo, v2, v13
	v_add_co_ci_u32_e32 v6, vcc_lo, 0, v6, vcc_lo
	v_mul_lo_u32 v11, s19, v2
	v_mad_u64_u32 v[9:10], null, s18, v2, 0
	v_mul_lo_u32 v12, s18, v6
	v_sub_co_u32 v9, vcc_lo, v7, v9
	v_add3_u32 v10, v10, v12, v11
	v_sub_nc_u32_e32 v11, v8, v10
	v_subrev_co_ci_u32_e64 v11, s0, s19, v11, vcc_lo
	v_add_co_u32 v12, s0, v2, 2
	v_add_co_ci_u32_e64 v13, s0, 0, v6, s0
	v_sub_co_u32 v14, s0, v9, s18
	v_sub_co_ci_u32_e32 v10, vcc_lo, v8, v10, vcc_lo
	v_subrev_co_ci_u32_e64 v11, s0, 0, v11, s0
	v_cmp_le_u32_e32 vcc_lo, s18, v14
	v_cmp_eq_u32_e64 s0, s19, v10
	v_cndmask_b32_e64 v14, 0, -1, vcc_lo
	v_cmp_le_u32_e32 vcc_lo, s19, v11
	v_cndmask_b32_e64 v15, 0, -1, vcc_lo
	v_cmp_le_u32_e32 vcc_lo, s18, v9
	;; [unrolled: 2-line block ×3, first 2 shown]
	v_cndmask_b32_e64 v16, 0, -1, vcc_lo
	v_cmp_eq_u32_e32 vcc_lo, s19, v11
	v_cndmask_b32_e64 v9, v16, v9, s0
	v_cndmask_b32_e32 v11, v15, v14, vcc_lo
	v_add_co_u32 v14, vcc_lo, v2, 1
	v_add_co_ci_u32_e32 v15, vcc_lo, 0, v6, vcc_lo
	v_cmp_ne_u32_e32 vcc_lo, 0, v11
	v_cndmask_b32_e32 v10, v15, v13, vcc_lo
	v_cndmask_b32_e32 v11, v14, v12, vcc_lo
	v_cmp_ne_u32_e32 vcc_lo, 0, v9
	v_cndmask_b32_e32 v10, v6, v10, vcc_lo
	v_cndmask_b32_e32 v9, v2, v11, vcc_lo
.LBB0_4:                                ;   in Loop: Header=BB0_2 Depth=1
	s_andn2_saveexec_b32 s0, s1
	s_cbranch_execz .LBB0_6
; %bb.5:                                ;   in Loop: Header=BB0_2 Depth=1
	v_cvt_f32_u32_e32 v2, s18
	s_sub_i32 s1, 0, s18
	v_rcp_iflag_f32_e32 v2, v2
	v_mul_f32_e32 v2, 0x4f7ffffe, v2
	v_cvt_u32_f32_e32 v2, v2
	v_mul_lo_u32 v6, s1, v2
	v_mul_hi_u32 v6, v2, v6
	v_add_nc_u32_e32 v2, v2, v6
	v_mul_hi_u32 v2, v7, v2
	v_mul_lo_u32 v6, v2, s18
	v_add_nc_u32_e32 v9, 1, v2
	v_sub_nc_u32_e32 v6, v7, v6
	v_subrev_nc_u32_e32 v10, s18, v6
	v_cmp_le_u32_e32 vcc_lo, s18, v6
	v_cndmask_b32_e32 v6, v6, v10, vcc_lo
	v_cndmask_b32_e32 v2, v2, v9, vcc_lo
	v_mov_b32_e32 v10, v5
	v_cmp_le_u32_e32 vcc_lo, s18, v6
	v_add_nc_u32_e32 v9, 1, v2
	v_cndmask_b32_e32 v9, v2, v9, vcc_lo
.LBB0_6:                                ;   in Loop: Header=BB0_2 Depth=1
	s_or_b32 exec_lo, exec_lo, s0
	s_load_dwordx2 s[0:1], s[6:7], 0x0
	v_mul_lo_u32 v2, v10, s18
	v_mul_lo_u32 v6, v9, s19
	v_mad_u64_u32 v[11:12], null, v9, s18, 0
	s_add_u32 s16, s16, 1
	s_addc_u32 s17, s17, 0
	s_add_u32 s6, s6, 8
	s_addc_u32 s7, s7, 0
	;; [unrolled: 2-line block ×3, first 2 shown]
	v_add3_u32 v2, v12, v6, v2
	v_sub_co_u32 v6, vcc_lo, v7, v11
	v_sub_co_ci_u32_e32 v2, vcc_lo, v8, v2, vcc_lo
	s_waitcnt lgkmcnt(0)
	v_mul_lo_u32 v7, s1, v6
	v_mul_lo_u32 v2, s0, v2
	v_mad_u64_u32 v[3:4], null, s0, v6, v[3:4]
	v_cmp_ge_u64_e64 s0, s[16:17], s[10:11]
	s_and_b32 vcc_lo, exec_lo, s0
	v_add3_u32 v4, v7, v4, v2
	s_cbranch_vccnz .LBB0_8
; %bb.7:                                ;   in Loop: Header=BB0_2 Depth=1
	v_mov_b32_e32 v7, v9
	v_mov_b32_e32 v8, v10
	s_branch .LBB0_2
.LBB0_8:
	s_lshl_b64 s[0:1], s[10:11], 3
	v_mul_hi_u32 v2, 0xaaaaaaab, v1
	s_add_u32 s0, s12, s0
	s_addc_u32 s1, s13, s1
	v_mul_hi_u32 v5, 0x3483484, v0
	s_load_dwordx2 s[0:1], s[0:1], 0x0
	s_load_dwordx2 s[4:5], s[4:5], 0x20
	v_lshrrev_b32_e32 v2, 1, v2
	v_mul_u32_u24_e32 v5, 0x4e, v5
	v_lshl_add_u32 v6, v2, 1, v2
	v_sub_nc_u32_e32 v52, v0, v5
	v_sub_nc_u32_e32 v0, v1, v6
	v_add_nc_u32_e32 v54, 0x4e, v52
	v_add_nc_u32_e32 v64, 0x9c, v52
	;; [unrolled: 1-line block ×3, first 2 shown]
	s_waitcnt lgkmcnt(0)
	v_mul_lo_u32 v5, s0, v10
	v_mul_lo_u32 v7, s1, v9
	v_mad_u64_u32 v[2:3], null, s0, v9, v[3:4]
	v_cmp_gt_u64_e32 vcc_lo, s[4:5], v[9:10]
	v_cmp_le_u64_e64 s0, s[4:5], v[9:10]
	v_add_nc_u32_e32 v60, 0x138, v52
	v_add_nc_u32_e32 v58, 0x186, v52
	v_add3_u32 v3, v7, v3, v5
	s_and_saveexec_b32 s1, s0
	s_xor_b32 s0, exec_lo, s1
; %bb.9:
	v_add_nc_u32_e32 v54, 0x4e, v52
	v_add_nc_u32_e32 v64, 0x9c, v52
	;; [unrolled: 1-line block ×5, first 2 shown]
; %bb.10:
	s_or_saveexec_b32 s1, s0
	v_mul_u32_u24_e32 v0, 0x3a9, v0
	v_lshlrev_b64 v[56:57], 4, v[2:3]
	v_lshlrev_b32_e32 v55, 4, v52
	v_lshlrev_b32_e32 v59, 4, v0
	s_xor_b32 exec_lo, exec_lo, s1
	s_cbranch_execz .LBB0_12
; %bb.11:
	v_mov_b32_e32 v53, 0
	v_add_co_u32 v2, s0, s2, v56
	v_add_co_ci_u32_e64 v3, s0, s3, v57, s0
	v_lshlrev_b64 v[0:1], 4, v[52:53]
	v_add3_u32 v48, 0, v59, v55
	v_add_co_u32 v24, s0, v2, v0
	v_add_co_ci_u32_e64 v25, s0, v3, v1, s0
	v_add_co_u32 v12, s0, 0x800, v24
	v_add_co_ci_u32_e64 v13, s0, 0, v25, s0
	;; [unrolled: 2-line block ×7, first 2 shown]
	s_clause 0xb
	global_load_dwordx4 v[0:3], v[24:25], off
	global_load_dwordx4 v[4:7], v[24:25], off offset:1248
	global_load_dwordx4 v[8:11], v[12:13], off offset:448
	;; [unrolled: 1-line block ×11, first 2 shown]
	s_waitcnt vmcnt(11)
	ds_write_b128 v48, v[0:3]
	s_waitcnt vmcnt(10)
	ds_write_b128 v48, v[4:7] offset:1248
	s_waitcnt vmcnt(9)
	ds_write_b128 v48, v[8:11] offset:2496
	;; [unrolled: 2-line block ×11, first 2 shown]
.LBB0_12:
	s_or_b32 exec_lo, exec_lo, s1
	v_add_nc_u32_e32 v196, 0, v59
	v_add3_u32 v53, 0, v55, v59
	s_waitcnt lgkmcnt(0)
	s_barrier
	buffer_gl0_inv
	v_add_nc_u32_e32 v195, v196, v55
	ds_read_b128 v[0:3], v53 offset:9984
	ds_read_b128 v[4:7], v53 offset:2496
	;; [unrolled: 1-line block ×4, first 2 shown]
	ds_read_b128 v[16:19], v195
	ds_read_b128 v[20:23], v53 offset:7488
	ds_read_b128 v[24:27], v53 offset:8736
	;; [unrolled: 1-line block ×7, first 2 shown]
	v_and_b32_e32 v79, 1, v52
	v_add_nc_u32_e32 v48, v53, v55
	v_lshl_add_u32 v49, v54, 5, v196
	v_lshl_add_u32 v50, v64, 5, v196
	;; [unrolled: 1-line block ×3, first 2 shown]
	v_lshlrev_b32_e32 v61, 4, v79
	v_lshl_add_u32 v71, v60, 5, v196
	v_lshl_add_u32 v72, v58, 5, v196
	s_waitcnt lgkmcnt(0)
	v_add_f64 v[0:1], v[4:5], -v[0:1]
	v_add_f64 v[2:3], v[6:7], -v[2:3]
	;; [unrolled: 1-line block ×12, first 2 shown]
	s_barrier
	buffer_gl0_inv
	v_lshlrev_b32_e32 v73, 4, v60
	v_lshlrev_b32_e32 v74, 4, v58
	v_cmp_gt_u32_e64 s0, 0x48, v52
	v_sub_nc_u32_e32 v199, v71, v73
	v_sub_nc_u32_e32 v198, v72, v74
	v_fma_f64 v[4:5], v[4:5], 2.0, -v[0:1]
	v_fma_f64 v[6:7], v[6:7], 2.0, -v[2:3]
	;; [unrolled: 1-line block ×12, first 2 shown]
	ds_write_b128 v48, v[20:23] offset:16
	ds_write_b128 v49, v[24:27] offset:16
	;; [unrolled: 1-line block ×6, first 2 shown]
	ds_write_b128 v48, v[16:19]
	ds_write_b128 v49, v[28:31]
	;; [unrolled: 1-line block ×6, first 2 shown]
	s_waitcnt lgkmcnt(0)
	s_barrier
	buffer_gl0_inv
	global_load_dwordx4 v[0:3], v61, s[8:9]
	ds_read_b128 v[4:7], v53 offset:7488
	ds_read_b128 v[8:11], v53 offset:8736
	;; [unrolled: 1-line block ×6, first 2 shown]
	v_lshlrev_b32_e32 v28, 4, v54
	v_lshlrev_b32_e32 v48, 4, v64
	v_sub_nc_u32_e32 v61, v49, v28
	v_lshlrev_b32_e32 v49, 4, v62
	v_sub_nc_u32_e32 v197, v50, v48
	ds_read_b128 v[40:43], v195
	ds_read_b128 v[44:47], v61
	v_sub_nc_u32_e32 v63, v51, v49
	ds_read_b128 v[48:51], v197
	ds_read_b128 v[71:74], v63
	s_waitcnt vmcnt(0) lgkmcnt(9)
	v_mul_f64 v[28:29], v[6:7], v[2:3]
	v_mul_f64 v[30:31], v[4:5], v[2:3]
	s_waitcnt lgkmcnt(8)
	v_mul_f64 v[32:33], v[10:11], v[2:3]
	v_mul_f64 v[34:35], v[8:9], v[2:3]
	s_waitcnt lgkmcnt(7)
	;; [unrolled: 3-line block ×5, first 2 shown]
	v_mul_f64 v[77:78], v[26:27], v[2:3]
	v_mul_f64 v[2:3], v[24:25], v[2:3]
	v_fma_f64 v[4:5], v[4:5], v[0:1], -v[28:29]
	v_fma_f64 v[6:7], v[6:7], v[0:1], v[30:31]
	v_fma_f64 v[28:29], v[8:9], v[0:1], -v[32:33]
	v_fma_f64 v[30:31], v[10:11], v[0:1], v[34:35]
	;; [unrolled: 2-line block ×6, first 2 shown]
	ds_read_b128 v[20:23], v199
	ds_read_b128 v[24:27], v198
	v_lshlrev_b32_e32 v70, 1, v52
	v_lshlrev_b32_e32 v69, 1, v62
	s_waitcnt lgkmcnt(0)
	s_barrier
	buffer_gl0_inv
	v_add_f64 v[8:9], v[40:41], -v[4:5]
	v_add_f64 v[10:11], v[42:43], -v[6:7]
	v_add_f64 v[16:17], v[44:45], -v[28:29]
	v_add_f64 v[18:19], v[46:47], -v[30:31]
	v_add_f64 v[28:29], v[48:49], -v[12:13]
	v_add_f64 v[30:31], v[50:51], -v[14:15]
	v_add_f64 v[36:37], v[71:72], -v[32:33]
	v_add_f64 v[38:39], v[73:74], -v[34:35]
	v_add_f64 v[32:33], v[20:21], -v[65:66]
	v_add_f64 v[34:35], v[22:23], -v[67:68]
	v_add_f64 v[4:5], v[24:25], -v[75:76]
	v_add_f64 v[6:7], v[26:27], -v[0:1]
	v_lshlrev_b32_e32 v0, 1, v60
	v_lshlrev_b32_e32 v66, 1, v58
	;; [unrolled: 1-line block ×4, first 2 shown]
	v_and_or_b32 v68, 0xfc, v70, v79
	v_and_or_b32 v77, 0x3fc, v0, v79
	;; [unrolled: 1-line block ×3, first 2 shown]
	v_fma_f64 v[0:1], v[40:41], 2.0, -v[8:9]
	v_fma_f64 v[2:3], v[42:43], 2.0, -v[10:11]
	;; [unrolled: 1-line block ×8, first 2 shown]
	v_and_or_b32 v76, 0x3fc, v67, v79
	v_fma_f64 v[48:49], v[20:21], 2.0, -v[32:33]
	v_fma_f64 v[50:51], v[22:23], 2.0, -v[34:35]
	;; [unrolled: 1-line block ×4, first 2 shown]
	v_and_or_b32 v20, 0x3fc, v69, v79
	v_and_or_b32 v21, 0x7fc, v66, v79
	v_lshl_add_u32 v22, v68, 4, v196
	v_lshl_add_u32 v23, v75, 4, v196
	;; [unrolled: 1-line block ×6, first 2 shown]
	ds_write_b128 v22, v[8:11] offset:32
	ds_write_b128 v22, v[0:3]
	ds_write_b128 v23, v[12:15]
	ds_write_b128 v23, v[16:19] offset:32
	ds_write_b128 v66, v[40:43]
	ds_write_b128 v66, v[28:31] offset:32
	ds_write_b128 v20, v[44:47]
	ds_write_b128 v20, v[36:39] offset:32
	ds_write_b128 v68, v[48:51]
	ds_write_b128 v68, v[32:35] offset:32
	ds_write_b128 v21, v[24:27]
	ds_write_b128 v21, v[4:7] offset:32
	s_waitcnt lgkmcnt(0)
	s_barrier
	buffer_gl0_inv
                                        ; implicit-def: $vgpr22_vgpr23
	s_and_saveexec_b32 s1, s0
	s_cbranch_execz .LBB0_14
; %bb.13:
	ds_read_b128 v[0:3], v195
	ds_read_b128 v[8:11], v53 offset:1152
	ds_read_b128 v[12:15], v53 offset:2304
	;; [unrolled: 1-line block ×12, first 2 shown]
.LBB0_14:
	s_or_b32 exec_lo, exec_lo, s1
	s_waitcnt lgkmcnt(0)
	s_barrier
	buffer_gl0_inv
	s_and_saveexec_b32 s33, s0
	s_cbranch_execz .LBB0_16
; %bb.15:
	v_and_b32_e32 v66, 3, v52
	s_mov_b32 s10, 0xebaa3ed8
	s_mov_b32 s0, 0xb2365da1
	;; [unrolled: 1-line block ×4, first 2 shown]
	v_mul_u32_u24_e32 v68, 12, v66
	s_mov_b32 s22, 0xe00740e9
	s_mov_b32 s6, 0x93053d00
	;; [unrolled: 1-line block ×4, first 2 shown]
	v_lshlrev_b32_e32 v68, 4, v68
	s_mov_b32 s19, 0x3fe22d96
	s_mov_b32 s5, 0xbfe7f3cc
	;; [unrolled: 1-line block ×4, first 2 shown]
	s_clause 0x1
	global_load_dwordx4 v[73:76], v68, s[8:9] offset:112
	global_load_dwordx4 v[77:80], v68, s[8:9] offset:96
	s_mov_b32 s20, 0x66966769
	s_mov_b32 s12, 0x2ef20147
	;; [unrolled: 1-line block ×24, first 2 shown]
	s_waitcnt vmcnt(1)
	v_mul_f64 v[71:72], v[44:45], v[75:76]
	v_fma_f64 v[71:72], v[46:47], v[73:74], v[71:72]
	v_mul_f64 v[46:47], v[46:47], v[75:76]
	v_fma_f64 v[44:45], v[44:45], v[73:74], -v[46:47]
	s_clause 0x1
	global_load_dwordx4 v[73:76], v68, s[8:9] offset:128
	global_load_dwordx4 v[81:84], v68, s[8:9] offset:144
	s_waitcnt vmcnt(1)
	v_mul_f64 v[46:47], v[36:37], v[75:76]
	v_fma_f64 v[46:47], v[38:39], v[73:74], v[46:47]
	v_mul_f64 v[38:39], v[38:39], v[75:76]
	v_add_f64 v[200:201], v[71:72], v[46:47]
	v_fma_f64 v[36:37], v[36:37], v[73:74], -v[38:39]
	v_mul_f64 v[38:39], v[28:29], v[79:80]
	v_add_f64 v[202:203], v[71:72], -v[46:47]
	v_mul_f64 v[147:148], v[200:201], s[10:11]
	v_add_f64 v[129:130], v[44:45], v[36:37]
	v_fma_f64 v[38:39], v[30:31], v[77:78], v[38:39]
	v_mul_f64 v[30:31], v[30:31], v[79:80]
	v_mul_f64 v[149:150], v[202:203], s[26:27]
	;; [unrolled: 1-line block ×8, first 2 shown]
	v_fma_f64 v[75:76], v[28:29], v[77:78], -v[30:31]
	s_waitcnt vmcnt(0)
	v_mul_f64 v[28:29], v[48:49], v[83:84]
	v_fma_f64 v[73:74], v[50:51], v[81:82], v[28:29]
	v_mul_f64 v[28:29], v[50:51], v[83:84]
	v_add_f64 v[191:192], v[38:39], v[73:74]
	v_fma_f64 v[48:49], v[48:49], v[81:82], -v[28:29]
	s_clause 0x1
	global_load_dwordx4 v[28:31], v68, s[8:9] offset:80
	global_load_dwordx4 v[77:80], v68, s[8:9] offset:64
	v_add_f64 v[193:194], v[38:39], -v[73:74]
	v_mul_f64 v[216:217], v[191:192], s[6:7]
	v_mul_f64 v[167:168], v[191:192], s[10:11]
	;; [unrolled: 1-line block ×4, first 2 shown]
	s_waitcnt vmcnt(1)
	v_mul_f64 v[50:51], v[40:41], v[30:31]
	v_mul_f64 v[30:31], v[42:43], v[30:31]
	v_fma_f64 v[50:51], v[42:43], v[28:29], v[50:51]
	v_fma_f64 v[42:43], v[40:41], v[28:29], -v[30:31]
	s_clause 0x1
	global_load_dwordx4 v[28:31], v68, s[8:9] offset:160
	global_load_dwordx4 v[81:84], v68, s[8:9] offset:176
	s_waitcnt vmcnt(1)
	v_mul_f64 v[40:41], v[32:33], v[30:31]
	v_mul_f64 v[30:31], v[34:35], v[30:31]
	v_fma_f64 v[40:41], v[34:35], v[28:29], v[40:41]
	v_fma_f64 v[32:33], v[32:33], v[28:29], -v[30:31]
	v_mul_f64 v[28:29], v[16:17], v[79:80]
	v_add_f64 v[187:188], v[50:51], v[40:41]
	v_add_f64 v[189:190], v[50:51], -v[40:41]
	v_fma_f64 v[34:35], v[18:19], v[77:78], v[28:29]
	v_mul_f64 v[18:19], v[18:19], v[79:80]
	v_mul_f64 v[212:213], v[187:188], s[10:11]
	;; [unrolled: 1-line block ×4, first 2 shown]
	v_fma_f64 v[77:78], v[16:17], v[77:78], -v[18:19]
	s_waitcnt vmcnt(0)
	v_mul_f64 v[16:17], v[24:25], v[83:84]
	v_mul_f64 v[165:166], v[189:190], s[14:15]
	v_fma_f64 v[79:80], v[26:27], v[81:82], v[16:17]
	v_mul_f64 v[16:17], v[26:27], v[83:84]
	v_add_f64 v[183:184], v[34:35], v[79:80]
	v_fma_f64 v[81:82], v[24:25], v[81:82], -v[16:17]
	s_clause 0x1
	global_load_dwordx4 v[24:27], v68, s[8:9] offset:32
	global_load_dwordx4 v[28:31], v68, s[8:9] offset:48
	v_add_f64 v[185:186], v[34:35], -v[79:80]
	v_mul_f64 v[208:209], v[183:184], s[22:23]
	v_mul_f64 v[210:211], v[185:186], s[38:39]
	;; [unrolled: 1-line block ×3, first 2 shown]
	s_waitcnt vmcnt(1)
	v_mul_f64 v[16:17], v[8:9], v[26:27]
	v_fma_f64 v[16:17], v[10:11], v[24:25], v[16:17]
	v_mul_f64 v[10:11], v[10:11], v[26:27]
	v_fma_f64 v[8:9], v[8:9], v[24:25], -v[10:11]
	s_clause 0x1
	global_load_dwordx4 v[24:27], v68, s[8:9] offset:208
	global_load_dwordx4 v[93:96], v68, s[8:9] offset:192
	s_waitcnt vmcnt(1)
	v_mul_f64 v[10:11], v[20:21], v[26:27]
	v_fma_f64 v[83:84], v[22:23], v[24:25], v[10:11]
	v_mul_f64 v[10:11], v[22:23], v[26:27]
	v_fma_f64 v[85:86], v[20:21], v[24:25], -v[10:11]
	v_mul_f64 v[10:11], v[12:13], v[30:31]
	v_add_f64 v[20:21], v[8:9], -v[85:86]
	v_fma_f64 v[87:88], v[14:15], v[28:29], v[10:11]
	v_mul_f64 v[10:11], v[14:15], v[30:31]
	v_add_f64 v[107:108], v[8:9], v[85:86]
	v_fma_f64 v[89:90], v[12:13], v[28:29], -v[10:11]
	s_waitcnt vmcnt(0)
	v_mul_f64 v[10:11], v[4:5], v[95:96]
	v_fma_f64 v[91:92], v[6:7], v[93:94], v[10:11]
	v_mul_f64 v[6:7], v[6:7], v[95:96]
	v_add_f64 v[175:176], v[87:88], v[91:92]
	v_fma_f64 v[93:94], v[4:5], v[93:94], -v[6:7]
	v_add_f64 v[4:5], v[16:17], v[83:84]
	v_add_f64 v[181:182], v[87:88], -v[91:92]
	v_mul_f64 v[204:205], v[175:176], s[4:5]
	v_mul_f64 v[155:156], v[175:176], s[0:1]
	;; [unrolled: 1-line block ×10, first 2 shown]
	v_fma_f64 v[22:23], v[20:21], s[16:17], v[6:7]
	v_fma_f64 v[6:7], v[20:21], s[40:41], v[6:7]
	;; [unrolled: 1-line block ×12, first 2 shown]
	v_add_f64 v[20:21], v[16:17], -v[83:84]
	v_add_f64 v[6:7], v[2:3], v[6:7]
	v_add_f64 v[24:25], v[2:3], v[24:25]
	;; [unrolled: 1-line block ×3, first 2 shown]
	v_mul_f64 v[10:11], v[183:184], s[4:5]
	v_add_f64 v[133:134], v[2:3], v[12:13]
	v_add_f64 v[26:27], v[2:3], v[26:27]
	;; [unrolled: 1-line block ×4, first 2 shown]
	v_mul_f64 v[95:96], v[20:21], s[40:41]
	v_mul_f64 v[97:98], v[20:21], s[30:31]
	;; [unrolled: 1-line block ×7, first 2 shown]
	v_fma_f64 v[111:112], v[107:108], s[6:7], -v[95:96]
	v_fma_f64 v[109:110], v[107:108], s[6:7], v[95:96]
	v_fma_f64 v[113:114], v[107:108], s[4:5], v[97:98]
	v_fma_f64 v[115:116], v[107:108], s[4:5], -v[97:98]
	v_fma_f64 v[117:118], v[107:108], s[0:1], v[101:102]
	v_fma_f64 v[101:102], v[107:108], s[0:1], -v[101:102]
	;; [unrolled: 2-line block ×5, first 2 shown]
	v_add_f64 v[97:98], v[0:1], v[8:9]
	v_add_f64 v[8:9], v[2:3], v[22:23]
	;; [unrolled: 1-line block ×6, first 2 shown]
	v_add_f64 v[111:112], v[89:90], -v[93:94]
	v_add_f64 v[16:17], v[0:1], v[109:110]
	v_add_f64 v[135:136], v[0:1], v[113:114]
	v_add_f64 v[139:140], v[0:1], v[115:116]
	v_add_f64 v[141:142], v[0:1], v[117:118]
	v_add_f64 v[131:132], v[0:1], v[101:102]
	v_add_f64 v[107:108], v[0:1], v[119:120]
	v_add_f64 v[143:144], v[0:1], v[103:104]
	v_add_f64 v[103:104], v[0:1], v[121:122]
	v_add_f64 v[159:160], v[0:1], v[123:124]
	v_add_f64 v[101:102], v[0:1], v[125:126]
	v_add_f64 v[179:180], v[0:1], v[20:21]
	v_add_f64 v[115:116], v[77:78], -v[81:82]
	v_add_f64 v[113:114], v[89:90], v[93:94]
	v_add_f64 v[109:110], v[2:3], v[28:29]
	;; [unrolled: 1-line block ×4, first 2 shown]
	v_add_f64 v[119:120], v[42:43], -v[32:33]
	v_add_f64 v[121:122], v[42:43], v[32:33]
	v_add_f64 v[123:124], v[75:76], -v[48:49]
	v_add_f64 v[125:126], v[75:76], v[48:49]
	v_add_f64 v[87:88], v[95:96], v[87:88]
	v_fma_f64 v[0:1], v[111:112], s[24:25], v[4:5]
	v_fma_f64 v[4:5], v[111:112], s[38:39], v[4:5]
	v_add_f64 v[89:90], v[97:98], v[89:90]
	v_fma_f64 v[12:13], v[115:116], s[14:15], v[10:11]
	v_add_f64 v[34:35], v[87:88], v[34:35]
	v_add_f64 v[0:1], v[0:1], v[8:9]
	v_mul_f64 v[8:9], v[181:182], s[38:39]
	v_add_f64 v[4:5], v[4:5], v[6:7]
	v_add_f64 v[77:78], v[89:90], v[77:78]
	;; [unrolled: 1-line block ×4, first 2 shown]
	v_fma_f64 v[2:3], v[113:114], s[22:23], v[8:9]
	v_mul_f64 v[12:13], v[185:186], s[30:31]
	v_fma_f64 v[6:7], v[113:114], s[22:23], -v[8:9]
	v_fma_f64 v[8:9], v[115:116], s[30:31], v[10:11]
	v_fma_f64 v[10:11], v[129:130], s[10:11], -v[149:150]
	v_add_f64 v[42:43], v[77:78], v[42:43]
	v_add_f64 v[34:35], v[34:35], v[38:39]
	;; [unrolled: 1-line block ×3, first 2 shown]
	v_fma_f64 v[14:15], v[117:118], s[4:5], v[12:13]
	v_add_f64 v[6:7], v[6:7], v[22:23]
	v_add_f64 v[4:5], v[8:9], v[4:5]
	v_fma_f64 v[8:9], v[117:118], s[4:5], -v[12:13]
	v_mul_f64 v[12:13], v[175:176], s[10:11]
	v_add_f64 v[38:39], v[42:43], v[75:76]
	v_add_f64 v[34:35], v[34:35], v[71:72]
	;; [unrolled: 1-line block ×3, first 2 shown]
	v_mul_f64 v[14:15], v[187:188], s[18:19]
	v_add_f64 v[6:7], v[8:9], v[6:7]
	v_add_f64 v[38:39], v[38:39], v[44:45]
	;; [unrolled: 1-line block ×3, first 2 shown]
	v_fma_f64 v[16:17], v[119:120], s[36:37], v[14:15]
	v_fma_f64 v[8:9], v[119:120], s[28:29], v[14:15]
	v_mul_f64 v[14:15], v[181:182], s[26:27]
	v_add_f64 v[34:35], v[34:35], v[73:74]
	v_add_f64 v[0:1], v[16:17], v[0:1]
	v_mul_f64 v[16:17], v[189:190], s[28:29]
	v_add_f64 v[4:5], v[8:9], v[4:5]
	v_add_f64 v[34:35], v[34:35], v[40:41]
	v_fma_f64 v[18:19], v[121:122], s[18:19], v[16:17]
	v_fma_f64 v[8:9], v[121:122], s[18:19], -v[16:17]
	v_mul_f64 v[16:17], v[183:184], s[18:19]
	v_add_f64 v[34:35], v[34:35], v[79:80]
	v_add_f64 v[2:3], v[18:19], v[2:3]
	v_mul_f64 v[18:19], v[191:192], s[0:1]
	v_add_f64 v[6:7], v[8:9], v[6:7]
	v_add_f64 v[34:35], v[34:35], v[91:92]
	v_fma_f64 v[20:21], v[123:124], s[12:13], v[18:19]
	v_fma_f64 v[8:9], v[123:124], s[34:35], v[18:19]
	;; [unrolled: 1-line block ×4, first 2 shown]
	v_add_f64 v[34:35], v[34:35], v[83:84]
	v_add_f64 v[0:1], v[20:21], v[0:1]
	v_mul_f64 v[20:21], v[193:194], s[34:35]
	v_add_f64 v[4:5], v[8:9], v[4:5]
	v_fma_f64 v[127:128], v[125:126], s[0:1], v[20:21]
	v_fma_f64 v[8:9], v[125:126], s[0:1], -v[20:21]
	v_add_f64 v[145:146], v[127:128], v[2:3]
	v_add_f64 v[127:128], v[44:45], -v[36:37]
	v_add_f64 v[8:9], v[8:9], v[6:7]
	v_add_f64 v[36:37], v[38:39], v[36:37]
	v_fma_f64 v[6:7], v[127:128], s[26:27], v[147:148]
	v_fma_f64 v[2:3], v[127:128], s[20:21], v[147:148]
	v_mul_f64 v[147:148], v[200:201], s[0:1]
	v_add_f64 v[36:37], v[36:37], v[48:49]
	v_add_f64 v[6:7], v[6:7], v[4:5]
	v_add_f64 v[4:5], v[10:11], v[8:9]
	v_fma_f64 v[8:9], v[111:112], s[20:21], v[12:13]
	v_fma_f64 v[10:11], v[113:114], s[10:11], v[14:15]
	;; [unrolled: 1-line block ×3, first 2 shown]
	v_fma_f64 v[14:15], v[113:114], s[10:11], -v[14:15]
	v_add_f64 v[2:3], v[2:3], v[0:1]
	v_fma_f64 v[0:1], v[129:130], s[10:11], v[149:150]
	v_mul_f64 v[149:150], v[202:203], s[34:35]
	v_add_f64 v[32:33], v[36:37], v[32:33]
	v_lshrrev_b32_e32 v36, 2, v52
	v_mul_u32_u24_e32 v36, 52, v36
	v_or_b32_e32 v36, v36, v66
	v_add_f64 v[8:9], v[8:9], v[24:25]
	v_add_f64 v[10:11], v[10:11], v[135:136]
	;; [unrolled: 1-line block ×4, first 2 shown]
	v_mul_f64 v[137:138], v[181:182], s[40:41]
	v_add_f64 v[0:1], v[0:1], v[145:146]
	v_mul_f64 v[139:140], v[183:184], s[0:1]
	v_add_f64 v[32:33], v[32:33], v[81:82]
	v_lshlrev_b32_e32 v36, 4, v36
	v_add3_u32 v36, 0, v36, v59
	v_add_f64 v[8:9], v[18:19], v[8:9]
	v_mul_f64 v[18:19], v[185:186], s[36:37]
	v_add_f64 v[12:13], v[16:17], v[12:13]
	v_add_f64 v[32:33], v[32:33], v[93:94]
	v_fma_f64 v[20:21], v[117:118], s[18:19], v[18:19]
	v_fma_f64 v[16:17], v[117:118], s[18:19], -v[18:19]
	v_fma_f64 v[18:19], v[129:130], s[0:1], -v[149:150]
	v_add_f64 v[32:33], v[32:33], v[85:86]
	v_add_f64 v[10:11], v[20:21], v[10:11]
	v_mul_f64 v[20:21], v[187:188], s[6:7]
	v_add_f64 v[14:15], v[16:17], v[14:15]
	v_fma_f64 v[22:23], v[119:120], s[40:41], v[20:21]
	v_fma_f64 v[16:17], v[119:120], s[16:17], v[20:21]
	;; [unrolled: 1-line block ×3, first 2 shown]
	v_add_f64 v[8:9], v[22:23], v[8:9]
	v_mul_f64 v[22:23], v[189:190], s[16:17]
	v_add_f64 v[12:13], v[16:17], v[12:13]
	v_fma_f64 v[24:25], v[121:122], s[6:7], v[22:23]
	v_fma_f64 v[16:17], v[121:122], s[6:7], -v[22:23]
	v_fma_f64 v[22:23], v[113:114], s[6:7], -v[137:138]
	v_add_f64 v[10:11], v[24:25], v[10:11]
	v_mul_f64 v[24:25], v[191:192], s[22:23]
	v_add_f64 v[14:15], v[16:17], v[14:15]
	v_add_f64 v[22:23], v[22:23], v[143:144]
	v_mul_f64 v[143:144], v[187:188], s[22:23]
	v_fma_f64 v[135:136], v[123:124], s[24:25], v[24:25]
	v_fma_f64 v[16:17], v[123:124], s[38:39], v[24:25]
	;; [unrolled: 1-line block ×3, first 2 shown]
	v_add_f64 v[8:9], v[135:136], v[8:9]
	v_mul_f64 v[135:136], v[193:194], s[38:39]
	v_add_f64 v[12:13], v[16:17], v[12:13]
	v_fma_f64 v[16:17], v[125:126], s[22:23], -v[135:136]
	v_fma_f64 v[145:146], v[125:126], s[22:23], v[135:136]
	v_mul_f64 v[135:136], v[175:176], s[6:7]
	v_mul_f64 v[175:176], v[175:176], s[18:19]
	v_add_f64 v[16:17], v[16:17], v[14:15]
	v_fma_f64 v[14:15], v[127:128], s[34:35], v[147:148]
	v_add_f64 v[145:146], v[145:146], v[10:11]
	v_fma_f64 v[10:11], v[127:128], s[12:13], v[147:148]
	v_mul_f64 v[147:148], v[191:192], s[18:19]
	v_add_f64 v[14:15], v[14:15], v[12:13]
	v_add_f64 v[12:13], v[18:19], v[16:17]
	v_fma_f64 v[16:17], v[111:112], s[30:31], v[204:205]
	v_fma_f64 v[18:19], v[113:114], s[4:5], v[206:207]
	v_add_f64 v[10:11], v[10:11], v[8:9]
	v_fma_f64 v[8:9], v[129:130], s[0:1], v[149:150]
	v_mul_f64 v[149:150], v[193:194], s[36:37]
	v_mul_f64 v[193:194], v[193:194], s[30:31]
	v_add_f64 v[16:17], v[16:17], v[26:27]
	v_add_f64 v[18:19], v[18:19], v[141:142]
	v_mul_f64 v[141:142], v[185:186], s[12:13]
	v_add_f64 v[8:9], v[8:9], v[145:146]
	v_mul_f64 v[145:146], v[189:190], s[38:39]
	v_fma_f64 v[26:27], v[113:114], s[0:1], -v[157:158]
	v_add_f64 v[16:17], v[20:21], v[16:17]
	v_fma_f64 v[20:21], v[117:118], s[22:23], v[210:211]
	v_add_f64 v[26:27], v[26:27], v[159:160]
	v_mul_f64 v[159:160], v[183:184], s[6:7]
	v_add_f64 v[18:19], v[20:21], v[18:19]
	v_fma_f64 v[20:21], v[119:120], s[26:27], v[212:213]
	v_add_f64 v[16:17], v[20:21], v[16:17]
	v_fma_f64 v[20:21], v[121:122], s[10:11], v[214:215]
	;; [unrolled: 2-line block ×7, first 2 shown]
	v_fma_f64 v[135:136], v[111:112], s[16:17], v[135:136]
	v_add_f64 v[20:21], v[20:21], v[28:29]
	v_fma_f64 v[28:29], v[115:116], s[40:41], v[159:160]
	v_add_f64 v[109:110], v[135:136], v[109:110]
	v_fma_f64 v[135:136], v[113:114], s[6:7], v[137:138]
	v_fma_f64 v[137:138], v[129:130], s[4:5], v[153:154]
	v_add_f64 v[20:21], v[24:25], v[20:21]
	v_fma_f64 v[24:25], v[117:118], s[0:1], -v[141:142]
	v_add_f64 v[107:108], v[135:136], v[107:108]
	v_fma_f64 v[135:136], v[115:116], s[34:35], v[139:140]
	v_add_f64 v[22:23], v[24:25], v[22:23]
	v_fma_f64 v[24:25], v[119:120], s[38:39], v[143:144]
	v_add_f64 v[109:110], v[135:136], v[109:110]
	v_fma_f64 v[135:136], v[117:118], s[0:1], v[141:142]
	v_add_f64 v[20:21], v[24:25], v[20:21]
	v_fma_f64 v[24:25], v[121:122], s[22:23], -v[145:146]
	v_add_f64 v[107:108], v[135:136], v[107:108]
	v_fma_f64 v[135:136], v[119:120], s[24:25], v[143:144]
	v_add_f64 v[22:23], v[24:25], v[22:23]
	v_fma_f64 v[24:25], v[123:124], s[36:37], v[147:148]
	v_add_f64 v[109:110], v[135:136], v[109:110]
	;; [unrolled: 8-line block ×4, first 2 shown]
	v_add_f64 v[109:110], v[135:136], v[109:110]
	v_fma_f64 v[135:136], v[111:112], s[12:13], v[155:156]
	v_fma_f64 v[137:138], v[129:130], s[22:23], v[173:174]
	v_add_f64 v[24:25], v[24:25], v[30:31]
	v_add_f64 v[105:106], v[135:136], v[105:106]
	v_fma_f64 v[135:136], v[113:114], s[0:1], v[157:158]
	v_add_f64 v[24:25], v[28:29], v[24:25]
	v_fma_f64 v[28:29], v[117:118], s[6:7], -v[161:162]
	v_add_f64 v[103:104], v[135:136], v[103:104]
	v_fma_f64 v[135:136], v[115:116], s[16:17], v[159:160]
	v_add_f64 v[26:27], v[28:29], v[26:27]
	v_fma_f64 v[28:29], v[119:120], s[14:15], v[163:164]
	v_add_f64 v[105:106], v[135:136], v[105:106]
	v_fma_f64 v[135:136], v[117:118], s[6:7], v[161:162]
	v_add_f64 v[24:25], v[28:29], v[24:25]
	v_fma_f64 v[28:29], v[121:122], s[4:5], -v[165:166]
	v_add_f64 v[103:104], v[135:136], v[103:104]
	v_fma_f64 v[135:136], v[119:120], s[30:31], v[163:164]
	v_add_f64 v[26:27], v[28:29], v[26:27]
	v_fma_f64 v[28:29], v[123:124], s[26:27], v[167:168]
	;; [unrolled: 8-line block ×4, first 2 shown]
	v_add_f64 v[103:104], v[137:138], v[103:104]
	v_add_f64 v[105:106], v[135:136], v[105:106]
	;; [unrolled: 1-line block ×3, first 2 shown]
	v_mul_f64 v[177:178], v[181:182], s[36:37]
	v_fma_f64 v[30:31], v[113:114], s[18:19], -v[177:178]
	v_add_f64 v[30:31], v[30:31], v[179:180]
	v_mul_f64 v[179:180], v[183:184], s[10:11]
	v_mul_f64 v[183:184], v[185:186], s[20:21]
	v_fma_f64 v[181:182], v[115:116], s[20:21], v[179:180]
	v_add_f64 v[28:29], v[181:182], v[28:29]
	v_fma_f64 v[181:182], v[117:118], s[10:11], -v[183:184]
	v_add_f64 v[30:31], v[181:182], v[30:31]
	v_mul_f64 v[181:182], v[187:188], s[0:1]
	v_mul_f64 v[187:188], v[189:190], s[34:35]
	v_fma_f64 v[185:186], v[119:120], s[34:35], v[181:182]
	v_add_f64 v[28:29], v[185:186], v[28:29]
	v_fma_f64 v[185:186], v[121:122], s[0:1], -v[187:188]
	v_add_f64 v[30:31], v[185:186], v[30:31]
	v_mul_f64 v[185:186], v[191:192], s[4:5]
	v_mul_f64 v[191:192], v[202:203], s[40:41]
	v_fma_f64 v[202:203], v[129:130], s[18:19], -v[222:223]
	v_fma_f64 v[189:190], v[123:124], s[30:31], v[185:186]
	v_add_f64 v[28:29], v[189:190], v[28:29]
	v_fma_f64 v[189:190], v[125:126], s[4:5], -v[193:194]
	v_add_f64 v[224:225], v[189:190], v[30:31]
	v_mul_f64 v[189:190], v[200:201], s[6:7]
	v_fma_f64 v[200:201], v[111:112], s[14:15], v[204:205]
	v_fma_f64 v[111:112], v[111:112], s[28:29], v[175:176]
	;; [unrolled: 1-line block ×3, first 2 shown]
	v_add_f64 v[133:134], v[200:201], v[133:134]
	v_fma_f64 v[200:201], v[113:114], s[4:5], -v[206:207]
	v_fma_f64 v[113:114], v[113:114], s[18:19], v[177:178]
	v_add_f64 v[99:100], v[111:112], v[99:100]
	v_fma_f64 v[111:112], v[119:120], s[12:13], v[181:182]
	v_add_f64 v[30:31], v[30:31], v[28:29]
	v_fma_f64 v[28:29], v[129:130], s[6:7], -v[191:192]
	v_add_f64 v[131:132], v[200:201], v[131:132]
	v_fma_f64 v[200:201], v[115:116], s[38:39], v[208:209]
	v_fma_f64 v[115:116], v[115:116], s[26:27], v[179:180]
	v_add_f64 v[101:102], v[113:114], v[101:102]
	v_fma_f64 v[113:114], v[121:122], s[0:1], v[187:188]
	v_add_f64 v[28:29], v[28:29], v[224:225]
	v_add_f64 v[133:134], v[200:201], v[133:134]
	v_fma_f64 v[200:201], v[117:118], s[22:23], -v[210:211]
	v_fma_f64 v[117:118], v[117:118], s[10:11], v[183:184]
	v_add_f64 v[99:100], v[115:116], v[99:100]
	v_fma_f64 v[115:116], v[123:124], s[14:15], v[185:186]
	v_add_f64 v[131:132], v[200:201], v[131:132]
	;; [unrolled: 2-line block ×5, first 2 shown]
	v_fma_f64 v[200:201], v[121:122], s[10:11], -v[214:215]
	v_add_f64 v[101:102], v[113:114], v[101:102]
	v_fma_f64 v[113:114], v[129:130], s[6:7], v[191:192]
	v_add_f64 v[99:100], v[115:116], v[99:100]
	v_add_f64 v[131:132], v[200:201], v[131:132]
	v_fma_f64 v[200:201], v[123:124], s[16:17], v[216:217]
	v_add_f64 v[115:116], v[117:118], v[101:102]
	v_add_f64 v[101:102], v[111:112], v[99:100]
	;; [unrolled: 1-line block ×3, first 2 shown]
	v_fma_f64 v[200:201], v[125:126], s[6:7], -v[218:219]
	v_add_f64 v[99:100], v[113:114], v[115:116]
	v_add_f64 v[131:132], v[200:201], v[131:132]
	v_fma_f64 v[200:201], v[127:128], s[28:29], v[220:221]
	v_add_f64 v[131:132], v[202:203], v[131:132]
	v_add_f64 v[133:134], v[200:201], v[133:134]
	ds_write_b128 v36, v[28:31] offset:64
	ds_write_b128 v36, v[24:27] offset:128
	ds_write_b128 v36, v[20:23] offset:192
	ds_write_b128 v36, v[131:134] offset:256
	ds_write_b128 v36, v[12:15] offset:320
	ds_write_b128 v36, v[4:7] offset:384
	ds_write_b128 v36, v[0:3] offset:448
	ds_write_b128 v36, v[8:11] offset:512
	ds_write_b128 v36, v[16:19] offset:576
	ds_write_b128 v36, v[107:110] offset:640
	ds_write_b128 v36, v[103:106] offset:704
	ds_write_b128 v36, v[32:35]
	ds_write_b128 v36, v[99:102] offset:768
.LBB0_16:
	s_or_b32 exec_lo, exec_lo, s33
	v_subrev_nc_u32_e32 v0, 52, v52
	v_cmp_gt_u32_e64 s0, 52, v52
	v_mov_b32_e32 v2, 0
	v_and_b32_e32 v3, 0xff, v54
	v_mov_b32_e32 v7, 0x4ec5
	s_waitcnt lgkmcnt(0)
	v_cndmask_b32_e64 v1, v0, v52, s0
	v_and_b32_e32 v0, 0xff, v64
	v_mul_lo_u16 v5, 0x4f, v3
	v_mul_u32_u24_sdwa v8, v60, v7 dst_sel:DWORD dst_unused:UNUSED_PAD src0_sel:WORD_0 src1_sel:DWORD
	s_barrier
	v_lshlrev_b64 v[3:4], 4, v[1:2]
	v_mul_lo_u16 v0, 0x4f, v0
	v_lshrrev_b16 v66, 12, v5
	v_lshrrev_b32_e32 v111, 20, v8
	buffer_gl0_inv
	v_mov_b32_e32 v71, v2
	v_add_co_u32 v5, s0, s8, v3
	v_add_co_ci_u32_e64 v6, s0, s9, v4, s0
	v_mul_u32_u24_sdwa v4, v62, v7 dst_sel:DWORD dst_unused:UNUSED_PAD src0_sel:WORD_0 src1_sel:DWORD
	v_lshrrev_b16 v68, 12, v0
	v_mul_u32_u24_sdwa v7, v58, v7 dst_sel:DWORD dst_unused:UNUSED_PAD src0_sel:WORD_0 src1_sel:DWORD
	v_mul_lo_u16 v3, v66, 52
	v_cmp_lt_u32_e64 s0, 51, v52
	v_lshrrev_b32_e32 v110, 20, v4
	v_mul_lo_u16 v10, v68, 52
	v_lshrrev_b32_e32 v112, 20, v7
	v_sub_nc_u16 v9, v54, v3
	v_mov_b32_e32 v3, 4
	v_mul_lo_u16 v7, v110, 52
	v_sub_nc_u16 v8, v64, v10
	v_mul_lo_u16 v10, v111, 52
	v_mul_lo_u16 v11, v112, 52
	v_lshlrev_b32_sdwa v113, v3, v9 dst_sel:DWORD dst_unused:UNUSED_PAD src0_sel:DWORD src1_sel:BYTE_0
	v_sub_nc_u16 v12, v62, v7
	v_lshlrev_b32_sdwa v114, v3, v8 dst_sel:DWORD dst_unused:UNUSED_PAD src0_sel:DWORD src1_sel:BYTE_0
	v_sub_nc_u16 v14, v60, v10
	v_sub_nc_u16 v18, v58, v11
	global_load_dwordx4 v[6:9], v[5:6], off offset:800
	v_lshlrev_b32_sdwa v115, v3, v12 dst_sel:DWORD dst_unused:UNUSED_PAD src0_sel:DWORD src1_sel:WORD_0
	global_load_dwordx4 v[10:13], v113, s[8:9] offset:800
	v_lshlrev_b32_sdwa v116, v3, v14 dst_sel:DWORD dst_unused:UNUSED_PAD src0_sel:DWORD src1_sel:WORD_0
	global_load_dwordx4 v[14:17], v114, s[8:9] offset:800
	v_lshlrev_b32_sdwa v117, v3, v18 dst_sel:DWORD dst_unused:UNUSED_PAD src0_sel:DWORD src1_sel:WORD_0
	s_clause 0x2
	global_load_dwordx4 v[18:21], v115, s[8:9] offset:800
	global_load_dwordx4 v[22:25], v116, s[8:9] offset:800
	;; [unrolled: 1-line block ×3, first 2 shown]
	ds_read_b128 v[30:33], v53 offset:7488
	ds_read_b128 v[34:37], v53 offset:8736
	;; [unrolled: 1-line block ×6, first 2 shown]
	ds_read_b128 v[76:79], v195
	ds_read_b128 v[80:83], v61
	;; [unrolled: 1-line block ×6, first 2 shown]
	v_cndmask_b32_e64 v118, 0, 0x680, s0
	v_subrev_nc_u32_e32 v5, 26, v52
	v_cmp_gt_u32_e64 s0, 26, v52
	v_lshlrev_b64 v[70:71], 4, v[70:71]
	v_and_b32_e32 v66, 0xffff, v66
	v_and_b32_e32 v68, 0xffff, v68
	v_lshrrev_b32_e32 v4, 21, v4
	v_cndmask_b32_e64 v5, v5, v54, s0
	v_mov_b32_e32 v119, 5
	v_mad_u32_u24 v66, 0x680, v66, 0
	v_mad_u32_u24 v68, 0x680, v68, 0
	v_mul_lo_u16 v4, 0x68, v4
	s_waitcnt vmcnt(0) lgkmcnt(0)
	s_barrier
	v_add3_u32 v66, v66, v113, v59
	v_add3_u32 v68, v68, v114, v59
	buffer_gl0_inv
	v_sub_nc_u16 v4, v62, v4
	s_mov_b32 s4, 0xe8584caa
	s_mov_b32 s5, 0x3febb67a
	;; [unrolled: 1-line block ×4, first 2 shown]
	s_add_u32 s1, s8, 0x3a60
	v_mul_f64 v[50:51], v[32:33], v[8:9]
	v_mul_f64 v[8:9], v[30:31], v[8:9]
	;; [unrolled: 1-line block ×12, first 2 shown]
	v_fma_f64 v[30:31], v[30:31], v[6:7], -v[50:51]
	v_fma_f64 v[32:33], v[32:33], v[6:7], v[8:9]
	v_fma_f64 v[34:35], v[34:35], v[10:11], -v[100:101]
	v_fma_f64 v[36:37], v[36:37], v[10:11], v[12:13]
	;; [unrolled: 2-line block ×6, first 2 shown]
	v_add_nc_u32_e32 v7, 0, v118
	v_lshlrev_b32_e32 v8, 4, v1
	v_lshlrev_b32_e32 v1, 1, v5
	v_lshrrev_b16 v6, 13, v0
	v_add_co_u32 v0, s0, s8, v70
	v_add3_u32 v100, v7, v8, v59
	v_lshlrev_b64 v[74:75], 4, v[1:2]
	v_add_co_ci_u32_e64 v1, s0, s9, v71, s0
	v_add_f64 v[7:8], v[76:77], -v[30:31]
	v_add_f64 v[9:10], v[78:79], -v[32:33]
	v_add_f64 v[11:12], v[80:81], -v[34:35]
	v_add_f64 v[13:14], v[82:83], -v[36:37]
	v_add_f64 v[15:16], v[84:85], -v[38:39]
	v_add_f64 v[17:18], v[86:87], -v[40:41]
	v_add_f64 v[19:20], v[88:89], -v[42:43]
	v_add_f64 v[21:22], v[90:91], -v[44:45]
	v_add_f64 v[23:24], v[92:93], -v[46:47]
	v_add_f64 v[25:26], v[94:95], -v[48:49]
	v_add_f64 v[27:28], v[96:97], -v[50:51]
	v_add_f64 v[29:30], v[98:99], -v[72:73]
	v_mad_u32_u24 v101, 0x680, v110, 0
	v_mad_u32_u24 v51, 0x680, v111, 0
	;; [unrolled: 1-line block ×3, first 2 shown]
	v_mul_lo_u16 v103, 0x68, v6
	v_add_co_u32 v74, s0, s8, v74
	v_add_co_ci_u32_e64 v75, s0, s9, v75, s0
	v_add3_u32 v51, v51, v116, v59
	v_cmp_lt_u32_e64 s0, 25, v52
	v_fma_f64 v[31:32], v[76:77], 2.0, -v[7:8]
	v_fma_f64 v[33:34], v[78:79], 2.0, -v[9:10]
	;; [unrolled: 1-line block ×12, first 2 shown]
	v_add3_u32 v76, v101, v115, v59
	v_add3_u32 v77, v102, v117, v59
	v_lshlrev_b32_e32 v5, 4, v5
	ds_write_b128 v100, v[7:10] offset:832
	ds_write_b128 v100, v[31:34]
	ds_write_b128 v66, v[11:14] offset:832
	ds_write_b128 v66, v[35:38]
	ds_write_b128 v68, v[39:42]
	ds_write_b128 v68, v[15:18] offset:832
	ds_write_b128 v76, v[43:46]
	ds_write_b128 v76, v[19:22] offset:832
	;; [unrolled: 2-line block ×4, first 2 shown]
	v_sub_nc_u16 v7, v64, v103
	s_waitcnt lgkmcnt(0)
	s_barrier
	buffer_gl0_inv
	s_clause 0x3
	global_load_dwordx4 v[8:11], v[0:1], off offset:1648
	global_load_dwordx4 v[12:15], v[0:1], off offset:1632
	;; [unrolled: 1-line block ×4, first 2 shown]
	v_lshlrev_b32_sdwa v28, v119, v7 dst_sel:DWORD dst_unused:UNUSED_PAD src0_sel:DWORD src1_sel:BYTE_0
	v_lshlrev_b32_sdwa v36, v119, v4 dst_sel:DWORD dst_unused:UNUSED_PAD src0_sel:DWORD src1_sel:WORD_0
	s_clause 0x3
	global_load_dwordx4 v[24:27], v28, s[8:9] offset:1632
	global_load_dwordx4 v[28:31], v28, s[8:9] offset:1648
	global_load_dwordx4 v[32:35], v36, s[8:9] offset:1632
	global_load_dwordx4 v[36:39], v36, s[8:9] offset:1648
	v_cndmask_b32_e64 v40, 0, 0x1380, s0
	v_mov_b32_e32 v66, v2
	v_mov_b32_e32 v68, v2
	v_mov_b32_e32 v70, v2
	v_add_nc_u32_e32 v42, 0, v40
	v_lshlrev_b64 v[40:41], 4, v[65:66]
	v_lshlrev_b64 v[44:45], 4, v[67:68]
	;; [unrolled: 1-line block ×3, first 2 shown]
	v_add3_u32 v113, v42, v5, v59
	v_and_b32_e32 v5, 0xffff, v6
	v_add_co_u32 v111, s0, s8, v40
	v_add_co_ci_u32_e64 v112, s0, s9, v41, s0
	ds_read_b128 v[40:43], v199
	v_add_co_u32 v114, s0, s8, v44
	v_add_co_ci_u32_e64 v115, s0, s9, v45, s0
	ds_read_b128 v[44:47], v53 offset:9984
	ds_read_b128 v[48:51], v198
	ds_read_b128 v[65:68], v53 offset:11232
	v_add_co_u32 v116, s0, s8, v69
	v_add_co_ci_u32_e64 v117, s0, s9, v70, s0
	ds_read_b128 v[69:72], v195
	ds_read_b128 v[73:76], v53 offset:7488
	ds_read_b128 v[77:80], v53 offset:12480
	;; [unrolled: 1-line block ×3, first 2 shown]
	ds_read_b128 v[85:88], v61
	ds_read_b128 v[89:92], v53 offset:13728
	v_mad_u32_u24 v118, 0x1380, v5, 0
	v_add_co_u32 v93, s0, 0x1360, v0
	v_add_co_ci_u32_e64 v94, s0, 0, v1, s0
	v_add_co_u32 v0, s0, 0x1000, v0
	v_add_co_ci_u32_e64 v1, s0, 0, v1, s0
	;; [unrolled: 2-line block ×3, first 2 shown]
	s_waitcnt vmcnt(7) lgkmcnt(8)
	v_mul_f64 v[95:96], v[46:47], v[10:11]
	s_waitcnt vmcnt(6)
	v_mul_f64 v[5:6], v[42:43], v[14:15]
	v_mul_f64 v[14:15], v[40:41], v[14:15]
	;; [unrolled: 1-line block ×3, first 2 shown]
	s_waitcnt vmcnt(5) lgkmcnt(7)
	v_mul_f64 v[97:98], v[50:51], v[18:19]
	s_waitcnt vmcnt(4) lgkmcnt(6)
	v_mul_f64 v[99:100], v[67:68], v[22:23]
	v_mul_f64 v[18:19], v[48:49], v[18:19]
	;; [unrolled: 1-line block ×3, first 2 shown]
	s_waitcnt vmcnt(3) lgkmcnt(4)
	v_mul_f64 v[101:102], v[75:76], v[26:27]
	v_mul_f64 v[26:27], v[73:74], v[26:27]
	s_waitcnt vmcnt(2) lgkmcnt(3)
	v_mul_f64 v[103:104], v[79:80], v[30:31]
	v_mul_f64 v[30:31], v[77:78], v[30:31]
	;; [unrolled: 3-line block ×4, first 2 shown]
	v_fma_f64 v[5:6], v[40:41], v[12:13], -v[5:6]
	v_fma_f64 v[40:41], v[42:43], v[12:13], v[14:15]
	v_fma_f64 v[42:43], v[44:45], v[8:9], -v[95:96]
	v_fma_f64 v[44:45], v[46:47], v[8:9], v[10:11]
	v_fma_f64 v[46:47], v[48:49], v[16:17], -v[97:98]
	v_fma_f64 v[48:49], v[65:66], v[20:21], -v[99:100]
	v_fma_f64 v[16:17], v[50:51], v[16:17], v[18:19]
	v_fma_f64 v[18:19], v[67:68], v[20:21], v[22:23]
	v_fma_f64 v[20:21], v[73:74], v[24:25], -v[101:102]
	v_fma_f64 v[22:23], v[77:78], v[28:29], -v[103:104]
	v_fma_f64 v[24:25], v[75:76], v[24:25], v[26:27]
	v_fma_f64 v[26:27], v[79:80], v[28:29], v[30:31]
	v_fma_f64 v[28:29], v[81:82], v[32:33], -v[105:106]
	v_fma_f64 v[30:31], v[89:90], v[36:37], -v[107:108]
	v_fma_f64 v[32:33], v[83:84], v[32:33], v[34:35]
	v_fma_f64 v[34:35], v[91:92], v[36:37], v[38:39]
	ds_read_b128 v[8:11], v197
	ds_read_b128 v[12:15], v63
	v_add_co_u32 v95, s0, 0x1000, v111
	v_add_co_ci_u32_e64 v96, s0, 0, v112, s0
	v_add_co_u32 v50, s0, 0x1360, v114
	v_add_f64 v[77:78], v[69:70], v[5:6]
	v_add_f64 v[36:37], v[5:6], v[42:43]
	v_add_f64 v[38:39], v[40:41], v[44:45]
	v_add_f64 v[81:82], v[40:41], -v[44:45]
	v_add_f64 v[65:66], v[46:47], v[48:49]
	v_add_f64 v[40:41], v[71:72], v[40:41]
	;; [unrolled: 1-line block ×3, first 2 shown]
	v_add_f64 v[91:92], v[5:6], -v[42:43]
	v_add_f64 v[75:76], v[20:21], v[22:23]
	v_add_f64 v[97:98], v[85:86], v[46:47]
	;; [unrolled: 1-line block ×5, first 2 shown]
	s_waitcnt lgkmcnt(1)
	v_add_f64 v[101:102], v[8:9], v[20:21]
	v_add_f64 v[89:90], v[32:33], v[34:35]
	;; [unrolled: 1-line block ×3, first 2 shown]
	s_waitcnt lgkmcnt(0)
	v_add_f64 v[105:106], v[12:13], v[28:29]
	v_add_f64 v[46:47], v[46:47], -v[48:49]
	v_add_f64 v[107:108], v[14:15], v[32:33]
	v_add_f64 v[111:112], v[28:29], -v[30:31]
	v_add_co_ci_u32_e64 v51, s0, 0, v115, s0
	v_add_f64 v[5:6], v[77:78], v[42:43]
	v_fma_f64 v[36:37], v[36:37], -0.5, v[69:70]
	v_fma_f64 v[38:39], v[38:39], -0.5, v[71:72]
	v_add_f64 v[69:70], v[16:17], -v[18:19]
	v_fma_f64 v[65:66], v[65:66], -0.5, v[85:86]
	v_add_f64 v[71:72], v[24:25], -v[26:27]
	;; [unrolled: 2-line block ×4, first 2 shown]
	v_fma_f64 v[79:80], v[79:80], -0.5, v[10:11]
	v_add_co_u32 v73, s0, 0x1000, v114
	v_fma_f64 v[83:84], v[83:84], -0.5, v[12:13]
	v_fma_f64 v[77:78], v[89:90], -0.5, v[14:15]
	v_lshlrev_b32_sdwa v114, v3, v7 dst_sel:DWORD dst_unused:UNUSED_PAD src0_sel:DWORD src1_sel:BYTE_0
	v_add_f64 v[7:8], v[40:41], v[44:45]
	v_add_f64 v[13:14], v[101:102], v[22:23]
	;; [unrolled: 1-line block ×7, first 2 shown]
	v_fma_f64 v[21:22], v[81:82], s[4:5], v[36:37]
	v_fma_f64 v[23:24], v[91:92], s[6:7], v[38:39]
	v_fma_f64 v[25:26], v[81:82], s[6:7], v[36:37]
	v_fma_f64 v[27:28], v[91:92], s[4:5], v[38:39]
	v_fma_f64 v[29:30], v[69:70], s[4:5], v[65:66]
	v_fma_f64 v[31:32], v[46:47], s[6:7], v[67:68]
	v_fma_f64 v[33:34], v[69:70], s[6:7], v[65:66]
	v_fma_f64 v[35:36], v[46:47], s[4:5], v[67:68]
	v_fma_f64 v[37:38], v[71:72], s[4:5], v[75:76]
	v_fma_f64 v[39:40], v[85:86], s[6:7], v[79:80]
	v_fma_f64 v[41:42], v[71:72], s[6:7], v[75:76]
	v_fma_f64 v[43:44], v[85:86], s[4:5], v[79:80]
	v_fma_f64 v[45:46], v[87:88], s[4:5], v[83:84]
	v_fma_f64 v[47:48], v[111:112], s[6:7], v[77:78]
	v_fma_f64 v[65:66], v[87:88], s[6:7], v[83:84]
	v_fma_f64 v[67:68], v[111:112], s[4:5], v[77:78]
	v_lshlrev_b32_sdwa v3, v3, v4 dst_sel:DWORD dst_unused:UNUSED_PAD src0_sel:DWORD src1_sel:WORD_0
	v_add_co_ci_u32_e64 v74, s0, 0, v115, s0
	v_add_co_u32 v69, s0, 0x1360, v116
	v_add3_u32 v4, v118, v114, v59
	v_add3_u32 v3, 0, v3, v59
	v_add_co_ci_u32_e64 v70, s0, 0, v117, s0
	s_barrier
	buffer_gl0_inv
	ds_write_b128 v53, v[5:8]
	ds_write_b128 v53, v[21:24] offset:1664
	ds_write_b128 v53, v[25:28] offset:3328
	ds_write_b128 v113, v[9:12]
	ds_write_b128 v113, v[29:32] offset:1664
	ds_write_b128 v113, v[33:36] offset:3328
	;; [unrolled: 3-line block ×3, first 2 shown]
	ds_write_b128 v3, v[17:20] offset:9984
	ds_write_b128 v3, v[45:48] offset:11648
	;; [unrolled: 1-line block ×3, first 2 shown]
	s_waitcnt lgkmcnt(0)
	s_barrier
	buffer_gl0_inv
	s_clause 0x3
	global_load_dwordx4 v[3:6], v[0:1], off offset:864
	global_load_dwordx4 v[7:10], v[93:94], off offset:16
	;; [unrolled: 1-line block ×4, first 2 shown]
	v_add_co_u32 v0, s0, 0x1000, v116
	v_add_co_ci_u32_e64 v1, s0, 0, v117, s0
	s_clause 0x3
	global_load_dwordx4 v[19:22], v[73:74], off offset:864
	global_load_dwordx4 v[23:26], v[50:51], off offset:16
	;; [unrolled: 1-line block ×4, first 2 shown]
	ds_read_b128 v[35:38], v199
	ds_read_b128 v[39:42], v53 offset:9984
	ds_read_b128 v[43:46], v198
	ds_read_b128 v[47:50], v53 offset:11232
	ds_read_b128 v[65:68], v53 offset:7488
	;; [unrolled: 1-line block ×5, first 2 shown]
	ds_read_b128 v[81:84], v195
	s_waitcnt vmcnt(7) lgkmcnt(8)
	v_mul_f64 v[0:1], v[37:38], v[5:6]
	s_waitcnt vmcnt(6) lgkmcnt(7)
	v_mul_f64 v[85:86], v[41:42], v[9:10]
	v_mul_f64 v[5:6], v[35:36], v[5:6]
	v_mul_f64 v[9:10], v[39:40], v[9:10]
	s_waitcnt vmcnt(5) lgkmcnt(6)
	v_mul_f64 v[87:88], v[45:46], v[13:14]
	s_waitcnt vmcnt(4) lgkmcnt(5)
	v_mul_f64 v[89:90], v[49:50], v[17:18]
	v_mul_f64 v[13:14], v[43:44], v[13:14]
	v_mul_f64 v[17:18], v[47:48], v[17:18]
	;; [unrolled: 6-line block ×4, first 2 shown]
	v_fma_f64 v[0:1], v[35:36], v[3:4], -v[0:1]
	v_fma_f64 v[35:36], v[39:40], v[7:8], -v[85:86]
	v_fma_f64 v[37:38], v[37:38], v[3:4], v[5:6]
	v_fma_f64 v[39:40], v[41:42], v[7:8], v[9:10]
	v_fma_f64 v[41:42], v[43:44], v[11:12], -v[87:88]
	v_fma_f64 v[43:44], v[47:48], v[15:16], -v[89:90]
	v_fma_f64 v[45:46], v[45:46], v[11:12], v[13:14]
	v_fma_f64 v[15:16], v[49:50], v[15:16], v[17:18]
	;; [unrolled: 4-line block ×4, first 2 shown]
	ds_read_b128 v[3:6], v61
	ds_read_b128 v[7:10], v197
	;; [unrolled: 1-line block ×3, first 2 shown]
	s_waitcnt lgkmcnt(0)
	s_barrier
	buffer_gl0_inv
	v_add_f64 v[69:70], v[81:82], v[0:1]
	v_add_f64 v[31:32], v[0:1], v[35:36]
	v_add_f64 v[0:1], v[0:1], -v[35:36]
	v_add_f64 v[33:34], v[37:38], v[39:40]
	v_add_f64 v[73:74], v[37:38], -v[39:40]
	v_add_f64 v[49:50], v[41:42], v[43:44]
	v_add_f64 v[37:38], v[83:84], v[37:38]
	;; [unrolled: 1-line block ×12, first 2 shown]
	v_add_f64 v[45:46], v[45:46], -v[15:16]
	v_add_f64 v[41:42], v[41:42], -v[43:44]
	v_add_f64 v[87:88], v[7:8], v[17:18]
	v_add_f64 v[95:96], v[27:28], -v[29:30]
	v_fma_f64 v[31:32], v[31:32], -0.5, v[81:82]
	v_add_f64 v[81:82], v[19:20], -v[21:22]
	v_fma_f64 v[33:34], v[33:34], -0.5, v[83:84]
	;; [unrolled: 2-line block ×4, first 2 shown]
	v_add_f64 v[3:4], v[69:70], v[35:36]
	v_fma_f64 v[67:68], v[67:68], -0.5, v[7:8]
	v_add_f64 v[5:6], v[37:38], v[39:40]
	v_fma_f64 v[71:72], v[71:72], -0.5, v[9:10]
	;; [unrolled: 2-line block ×3, first 2 shown]
	v_fma_f64 v[69:70], v[77:78], -0.5, v[13:14]
	v_add_f64 v[13:14], v[89:90], v[21:22]
	v_add_f64 v[15:16], v[91:92], v[25:26]
	;; [unrolled: 1-line block ×5, first 2 shown]
	v_fma_f64 v[19:20], v[73:74], s[4:5], v[31:32]
	v_fma_f64 v[23:24], v[73:74], s[6:7], v[31:32]
	;; [unrolled: 1-line block ×16, first 2 shown]
	ds_write_b128 v53, v[3:6]
	ds_write_b128 v53, v[19:22] offset:4992
	ds_write_b128 v53, v[23:26] offset:9984
	ds_write_b128 v61, v[7:10]
	ds_write_b128 v61, v[27:30] offset:4992
	ds_write_b128 v61, v[31:34] offset:9984
	;; [unrolled: 3-line block ×4, first 2 shown]
	s_waitcnt lgkmcnt(0)
	s_barrier
	buffer_gl0_inv
	ds_read_b128 v[4:7], v195
	v_sub_nc_u32_e32 v12, v196, v55
	s_addc_u32 s4, s9, 0
	s_mov_b32 s5, exec_lo
                                        ; implicit-def: $vgpr0_vgpr1
                                        ; implicit-def: $vgpr8_vgpr9
                                        ; implicit-def: $vgpr10_vgpr11
	v_cmpx_ne_u32_e32 0, v52
	s_xor_b32 s5, exec_lo, s5
	s_cbranch_execz .LBB0_18
; %bb.17:
	v_mov_b32_e32 v53, v2
	v_lshlrev_b64 v[0:1], 4, v[52:53]
	v_add_co_u32 v0, s0, s1, v0
	v_add_co_ci_u32_e64 v1, s0, s4, v1, s0
	global_load_dwordx4 v[13:16], v[0:1], off
	ds_read_b128 v[0:3], v12 offset:14976
	s_waitcnt lgkmcnt(0)
	v_add_f64 v[8:9], v[4:5], -v[0:1]
	v_add_f64 v[10:11], v[6:7], v[2:3]
	v_add_f64 v[2:3], v[6:7], -v[2:3]
	v_add_f64 v[0:1], v[4:5], v[0:1]
	v_mul_f64 v[6:7], v[8:9], 0.5
	v_mul_f64 v[4:5], v[10:11], 0.5
	;; [unrolled: 1-line block ×3, first 2 shown]
	s_waitcnt vmcnt(0)
	v_mul_f64 v[8:9], v[6:7], v[15:16]
	v_fma_f64 v[10:11], v[4:5], v[15:16], v[2:3]
	v_fma_f64 v[2:3], v[4:5], v[15:16], -v[2:3]
	v_fma_f64 v[17:18], v[0:1], 0.5, v[8:9]
	v_fma_f64 v[0:1], v[0:1], 0.5, -v[8:9]
	v_fma_f64 v[10:11], -v[13:14], v[6:7], v[10:11]
	v_fma_f64 v[2:3], -v[13:14], v[6:7], v[2:3]
	v_fma_f64 v[8:9], v[4:5], v[13:14], v[17:18]
	v_fma_f64 v[0:1], -v[4:5], v[13:14], v[0:1]
                                        ; implicit-def: $vgpr4_vgpr5
.LBB0_18:
	s_andn2_saveexec_b32 s0, s5
	s_cbranch_execz .LBB0_20
; %bb.19:
	ds_read_b64 v[13:14], v196 offset:7496
	s_waitcnt lgkmcnt(1)
	v_add_f64 v[8:9], v[4:5], v[6:7]
	v_add_f64 v[0:1], v[4:5], -v[6:7]
	v_mov_b32_e32 v10, 0
	v_mov_b32_e32 v11, 0
	;; [unrolled: 1-line block ×4, first 2 shown]
	s_waitcnt lgkmcnt(0)
	v_xor_b32_e32 v14, 0x80000000, v14
	ds_write_b64 v196, v[13:14] offset:7496
.LBB0_20:
	s_or_b32 exec_lo, exec_lo, s0
	v_mov_b32_e32 v55, 0
	v_lshl_add_u32 v25, v54, 4, v196
	ds_write2_b64 v195, v[8:9], v[10:11] offset1:1
	ds_write_b128 v12, v[0:3] offset:14976
	v_lshl_add_u32 v26, v64, 4, v196
	s_waitcnt lgkmcnt(2)
	v_lshlrev_b64 v[4:5], 4, v[54:55]
	v_mov_b32_e32 v65, v55
	v_mov_b32_e32 v63, v55
	;; [unrolled: 1-line block ×4, first 2 shown]
	v_lshlrev_b64 v[13:14], 4, v[64:65]
	v_add_co_u32 v4, s0, s1, v4
	v_add_co_ci_u32_e64 v5, s0, s4, v5, s0
	v_lshlrev_b64 v[17:18], 4, v[62:63]
	v_add_co_u32 v13, s0, s1, v13
	global_load_dwordx4 v[4:7], v[4:5], off
	v_add_co_ci_u32_e64 v14, s0, s4, v14, s0
	v_add_co_u32 v17, s0, s1, v17
	v_add_co_ci_u32_e64 v18, s0, s4, v18, s0
	global_load_dwordx4 v[13:16], v[13:14], off
	ds_read_b128 v[0:3], v25
	ds_read_b128 v[8:11], v12 offset:13728
	global_load_dwordx4 v[17:20], v[17:18], off
	s_waitcnt lgkmcnt(0)
	v_add_f64 v[21:22], v[0:1], -v[8:9]
	v_add_f64 v[23:24], v[2:3], v[10:11]
	v_add_f64 v[2:3], v[2:3], -v[10:11]
	v_add_f64 v[0:1], v[0:1], v[8:9]
	v_mul_f64 v[10:11], v[21:22], 0.5
	v_mul_f64 v[21:22], v[23:24], 0.5
	;; [unrolled: 1-line block ×3, first 2 shown]
	s_waitcnt vmcnt(2)
	v_mul_f64 v[8:9], v[10:11], v[6:7]
	v_fma_f64 v[23:24], v[21:22], v[6:7], v[2:3]
	v_fma_f64 v[2:3], v[21:22], v[6:7], -v[2:3]
	v_fma_f64 v[6:7], v[0:1], 0.5, v[8:9]
	v_fma_f64 v[0:1], v[0:1], 0.5, -v[8:9]
	v_fma_f64 v[8:9], -v[4:5], v[10:11], v[23:24]
	v_fma_f64 v[2:3], -v[4:5], v[10:11], v[2:3]
	v_lshlrev_b64 v[10:11], 4, v[60:61]
	v_fma_f64 v[6:7], v[21:22], v[4:5], v[6:7]
	v_fma_f64 v[0:1], -v[21:22], v[4:5], v[0:1]
	ds_write2_b64 v25, v[6:7], v[8:9] offset1:1
	ds_write_b128 v12, v[0:3] offset:13728
	v_add_co_u32 v8, s0, s1, v10
	ds_read_b128 v[0:3], v26
	ds_read_b128 v[4:7], v12 offset:12480
	v_add_co_ci_u32_e64 v9, s0, s4, v11, s0
	v_lshl_add_u32 v25, v62, 4, v196
	global_load_dwordx4 v[8:11], v[8:9], off
	s_waitcnt lgkmcnt(0)
	v_add_f64 v[21:22], v[0:1], -v[4:5]
	v_add_f64 v[23:24], v[2:3], v[6:7]
	v_add_f64 v[2:3], v[2:3], -v[6:7]
	v_add_f64 v[0:1], v[0:1], v[4:5]
	v_mul_f64 v[6:7], v[21:22], 0.5
	v_mul_f64 v[21:22], v[23:24], 0.5
	;; [unrolled: 1-line block ×3, first 2 shown]
	s_waitcnt vmcnt(2)
	v_mul_f64 v[4:5], v[6:7], v[15:16]
	v_fma_f64 v[23:24], v[21:22], v[15:16], v[2:3]
	v_fma_f64 v[2:3], v[21:22], v[15:16], -v[2:3]
	v_fma_f64 v[15:16], v[0:1], 0.5, v[4:5]
	v_fma_f64 v[0:1], v[0:1], 0.5, -v[4:5]
	v_fma_f64 v[4:5], -v[13:14], v[6:7], v[23:24]
	v_fma_f64 v[2:3], -v[13:14], v[6:7], v[2:3]
	v_fma_f64 v[6:7], v[21:22], v[13:14], v[15:16]
	v_fma_f64 v[0:1], -v[21:22], v[13:14], v[0:1]
	v_lshlrev_b64 v[13:14], 4, v[58:59]
	ds_write2_b64 v26, v[6:7], v[4:5] offset1:1
	ds_write_b128 v12, v[0:3] offset:12480
	v_add_co_u32 v13, s0, s1, v13
	ds_read_b128 v[0:3], v25
	ds_read_b128 v[4:7], v12 offset:11232
	v_add_co_ci_u32_e64 v14, s0, s4, v14, s0
	global_load_dwordx4 v[13:16], v[13:14], off
	s_waitcnt lgkmcnt(0)
	v_add_f64 v[21:22], v[0:1], -v[4:5]
	v_add_f64 v[23:24], v[2:3], v[6:7]
	v_add_f64 v[2:3], v[2:3], -v[6:7]
	v_add_f64 v[0:1], v[0:1], v[4:5]
	v_mul_f64 v[6:7], v[21:22], 0.5
	v_mul_f64 v[21:22], v[23:24], 0.5
	;; [unrolled: 1-line block ×3, first 2 shown]
	s_waitcnt vmcnt(2)
	v_mul_f64 v[4:5], v[6:7], v[19:20]
	v_fma_f64 v[23:24], v[21:22], v[19:20], v[2:3]
	v_fma_f64 v[2:3], v[21:22], v[19:20], -v[2:3]
	v_fma_f64 v[19:20], v[0:1], 0.5, v[4:5]
	v_fma_f64 v[0:1], v[0:1], 0.5, -v[4:5]
	v_fma_f64 v[4:5], -v[17:18], v[6:7], v[23:24]
	v_fma_f64 v[2:3], -v[17:18], v[6:7], v[2:3]
	v_fma_f64 v[6:7], v[21:22], v[17:18], v[19:20]
	v_fma_f64 v[0:1], -v[21:22], v[17:18], v[0:1]
	v_lshl_add_u32 v21, v60, 4, v196
	ds_write2_b64 v25, v[6:7], v[4:5] offset1:1
	ds_write_b128 v12, v[0:3] offset:11232
	ds_read_b128 v[0:3], v21
	ds_read_b128 v[4:7], v12 offset:9984
	s_waitcnt lgkmcnt(0)
	v_add_f64 v[17:18], v[0:1], -v[4:5]
	v_add_f64 v[19:20], v[2:3], v[6:7]
	v_add_f64 v[2:3], v[2:3], -v[6:7]
	v_add_f64 v[0:1], v[0:1], v[4:5]
	v_mul_f64 v[6:7], v[17:18], 0.5
	v_mul_f64 v[17:18], v[19:20], 0.5
	;; [unrolled: 1-line block ×3, first 2 shown]
	s_waitcnt vmcnt(1)
	v_mul_f64 v[4:5], v[6:7], v[10:11]
	v_fma_f64 v[19:20], v[17:18], v[10:11], v[2:3]
	v_fma_f64 v[2:3], v[17:18], v[10:11], -v[2:3]
	v_fma_f64 v[10:11], v[0:1], 0.5, v[4:5]
	v_fma_f64 v[0:1], v[0:1], 0.5, -v[4:5]
	v_fma_f64 v[4:5], -v[8:9], v[6:7], v[19:20]
	v_fma_f64 v[2:3], -v[8:9], v[6:7], v[2:3]
	v_fma_f64 v[6:7], v[17:18], v[8:9], v[10:11]
	v_fma_f64 v[0:1], -v[17:18], v[8:9], v[0:1]
	v_lshl_add_u32 v17, v58, 4, v196
	ds_write2_b64 v21, v[6:7], v[4:5] offset1:1
	ds_write_b128 v12, v[0:3] offset:9984
	ds_read_b128 v[0:3], v17
	ds_read_b128 v[4:7], v12 offset:8736
	s_waitcnt lgkmcnt(0)
	v_add_f64 v[8:9], v[0:1], -v[4:5]
	v_add_f64 v[10:11], v[2:3], v[6:7]
	v_add_f64 v[2:3], v[2:3], -v[6:7]
	v_add_f64 v[0:1], v[0:1], v[4:5]
	v_mul_f64 v[6:7], v[8:9], 0.5
	v_mul_f64 v[8:9], v[10:11], 0.5
	;; [unrolled: 1-line block ×3, first 2 shown]
	s_waitcnt vmcnt(0)
	v_mul_f64 v[4:5], v[6:7], v[15:16]
	v_fma_f64 v[10:11], v[8:9], v[15:16], v[2:3]
	v_fma_f64 v[2:3], v[8:9], v[15:16], -v[2:3]
	v_fma_f64 v[15:16], v[0:1], 0.5, v[4:5]
	v_fma_f64 v[0:1], v[0:1], 0.5, -v[4:5]
	v_fma_f64 v[4:5], -v[13:14], v[6:7], v[10:11]
	v_fma_f64 v[2:3], -v[13:14], v[6:7], v[2:3]
	v_fma_f64 v[6:7], v[8:9], v[13:14], v[15:16]
	v_fma_f64 v[0:1], -v[8:9], v[13:14], v[0:1]
	ds_write2_b64 v17, v[6:7], v[4:5] offset1:1
	ds_write_b128 v12, v[0:3] offset:8736
	s_waitcnt lgkmcnt(0)
	s_barrier
	buffer_gl0_inv
	s_and_saveexec_b32 s0, vcc_lo
	s_cbranch_execz .LBB0_23
; %bb.21:
	v_mov_b32_e32 v53, v55
	v_add_co_u32 v0, vcc_lo, s2, v56
	ds_read_b128 v[2:5], v195
	ds_read_b128 v[6:9], v195 offset:1248
	ds_read_b128 v[10:13], v195 offset:2496
	;; [unrolled: 1-line block ×4, first 2 shown]
	v_add_co_ci_u32_e32 v1, vcc_lo, s3, v57, vcc_lo
	v_lshlrev_b64 v[22:23], 4, v[52:53]
	v_add_co_u32 v30, vcc_lo, v0, v22
	v_add_co_ci_u32_e32 v31, vcc_lo, v1, v23, vcc_lo
	ds_read_b128 v[22:25], v195 offset:6240
	ds_read_b128 v[26:29], v195 offset:7488
	v_add_co_u32 v32, vcc_lo, 0x800, v30
	v_add_co_ci_u32_e32 v33, vcc_lo, 0, v31, vcc_lo
	v_add_co_u32 v34, vcc_lo, 0x1000, v30
	v_add_co_ci_u32_e32 v35, vcc_lo, 0, v31, vcc_lo
	s_waitcnt lgkmcnt(6)
	global_store_dwordx4 v[30:31], v[2:5], off
	s_waitcnt lgkmcnt(5)
	global_store_dwordx4 v[30:31], v[6:9], off offset:1248
	s_waitcnt lgkmcnt(4)
	global_store_dwordx4 v[32:33], v[10:13], off offset:448
	;; [unrolled: 2-line block ×4, first 2 shown]
	v_add_co_u32 v32, vcc_lo, 0x1800, v30
	ds_read_b128 v[2:5], v195 offset:8736
	ds_read_b128 v[6:9], v195 offset:9984
	;; [unrolled: 1-line block ×5, first 2 shown]
	v_add_co_ci_u32_e32 v33, vcc_lo, 0, v31, vcc_lo
	s_waitcnt lgkmcnt(6)
	global_store_dwordx4 v[32:33], v[22:25], off offset:96
	s_waitcnt lgkmcnt(5)
	global_store_dwordx4 v[32:33], v[26:29], off offset:1344
	v_add_co_u32 v22, vcc_lo, 0x2000, v30
	v_add_co_ci_u32_e32 v23, vcc_lo, 0, v31, vcc_lo
	v_add_co_u32 v24, vcc_lo, 0x2800, v30
	v_add_co_ci_u32_e32 v25, vcc_lo, 0, v31, vcc_lo
	;; [unrolled: 2-line block ×3, first 2 shown]
	v_cmp_eq_u32_e32 vcc_lo, 0x4d, v52
	s_waitcnt lgkmcnt(4)
	global_store_dwordx4 v[22:23], v[2:5], off offset:544
	s_waitcnt lgkmcnt(3)
	global_store_dwordx4 v[22:23], v[6:9], off offset:1792
	;; [unrolled: 2-line block ×5, first 2 shown]
	s_and_b32 exec_lo, exec_lo, vcc_lo
	s_cbranch_execz .LBB0_23
; %bb.22:
	ds_read_b128 v[2:5], v195 offset:13744
	v_add_co_u32 v0, vcc_lo, 0x3800, v0
	v_add_co_ci_u32_e32 v1, vcc_lo, 0, v1, vcc_lo
	s_waitcnt lgkmcnt(0)
	global_store_dwordx4 v[0:1], v[2:5], off offset:640
.LBB0_23:
	s_endpgm
	.section	.rodata,"a",@progbits
	.p2align	6, 0x0
	.amdhsa_kernel fft_rtc_fwd_len936_factors_2_2_13_2_3_3_wgs_234_tpt_78_halfLds_dp_ip_CI_unitstride_sbrr_R2C_dirReg
		.amdhsa_group_segment_fixed_size 0
		.amdhsa_private_segment_fixed_size 0
		.amdhsa_kernarg_size 88
		.amdhsa_user_sgpr_count 6
		.amdhsa_user_sgpr_private_segment_buffer 1
		.amdhsa_user_sgpr_dispatch_ptr 0
		.amdhsa_user_sgpr_queue_ptr 0
		.amdhsa_user_sgpr_kernarg_segment_ptr 1
		.amdhsa_user_sgpr_dispatch_id 0
		.amdhsa_user_sgpr_flat_scratch_init 0
		.amdhsa_user_sgpr_private_segment_size 0
		.amdhsa_wavefront_size32 1
		.amdhsa_uses_dynamic_stack 0
		.amdhsa_system_sgpr_private_segment_wavefront_offset 0
		.amdhsa_system_sgpr_workgroup_id_x 1
		.amdhsa_system_sgpr_workgroup_id_y 0
		.amdhsa_system_sgpr_workgroup_id_z 0
		.amdhsa_system_sgpr_workgroup_info 0
		.amdhsa_system_vgpr_workitem_id 0
		.amdhsa_next_free_vgpr 226
		.amdhsa_next_free_sgpr 42
		.amdhsa_reserve_vcc 1
		.amdhsa_reserve_flat_scratch 0
		.amdhsa_float_round_mode_32 0
		.amdhsa_float_round_mode_16_64 0
		.amdhsa_float_denorm_mode_32 3
		.amdhsa_float_denorm_mode_16_64 3
		.amdhsa_dx10_clamp 1
		.amdhsa_ieee_mode 1
		.amdhsa_fp16_overflow 0
		.amdhsa_workgroup_processor_mode 1
		.amdhsa_memory_ordered 1
		.amdhsa_forward_progress 0
		.amdhsa_shared_vgpr_count 0
		.amdhsa_exception_fp_ieee_invalid_op 0
		.amdhsa_exception_fp_denorm_src 0
		.amdhsa_exception_fp_ieee_div_zero 0
		.amdhsa_exception_fp_ieee_overflow 0
		.amdhsa_exception_fp_ieee_underflow 0
		.amdhsa_exception_fp_ieee_inexact 0
		.amdhsa_exception_int_div_zero 0
	.end_amdhsa_kernel
	.text
.Lfunc_end0:
	.size	fft_rtc_fwd_len936_factors_2_2_13_2_3_3_wgs_234_tpt_78_halfLds_dp_ip_CI_unitstride_sbrr_R2C_dirReg, .Lfunc_end0-fft_rtc_fwd_len936_factors_2_2_13_2_3_3_wgs_234_tpt_78_halfLds_dp_ip_CI_unitstride_sbrr_R2C_dirReg
                                        ; -- End function
	.section	.AMDGPU.csdata,"",@progbits
; Kernel info:
; codeLenInByte = 12916
; NumSgprs: 44
; NumVgprs: 226
; ScratchSize: 0
; MemoryBound: 0
; FloatMode: 240
; IeeeMode: 1
; LDSByteSize: 0 bytes/workgroup (compile time only)
; SGPRBlocks: 5
; VGPRBlocks: 28
; NumSGPRsForWavesPerEU: 44
; NumVGPRsForWavesPerEU: 226
; Occupancy: 4
; WaveLimiterHint : 1
; COMPUTE_PGM_RSRC2:SCRATCH_EN: 0
; COMPUTE_PGM_RSRC2:USER_SGPR: 6
; COMPUTE_PGM_RSRC2:TRAP_HANDLER: 0
; COMPUTE_PGM_RSRC2:TGID_X_EN: 1
; COMPUTE_PGM_RSRC2:TGID_Y_EN: 0
; COMPUTE_PGM_RSRC2:TGID_Z_EN: 0
; COMPUTE_PGM_RSRC2:TIDIG_COMP_CNT: 0
	.text
	.p2alignl 6, 3214868480
	.fill 48, 4, 3214868480
	.type	__hip_cuid_1f3955edd2a8951,@object ; @__hip_cuid_1f3955edd2a8951
	.section	.bss,"aw",@nobits
	.globl	__hip_cuid_1f3955edd2a8951
__hip_cuid_1f3955edd2a8951:
	.byte	0                               ; 0x0
	.size	__hip_cuid_1f3955edd2a8951, 1

	.ident	"AMD clang version 19.0.0git (https://github.com/RadeonOpenCompute/llvm-project roc-6.4.0 25133 c7fe45cf4b819c5991fe208aaa96edf142730f1d)"
	.section	".note.GNU-stack","",@progbits
	.addrsig
	.addrsig_sym __hip_cuid_1f3955edd2a8951
	.amdgpu_metadata
---
amdhsa.kernels:
  - .args:
      - .actual_access:  read_only
        .address_space:  global
        .offset:         0
        .size:           8
        .value_kind:     global_buffer
      - .offset:         8
        .size:           8
        .value_kind:     by_value
      - .actual_access:  read_only
        .address_space:  global
        .offset:         16
        .size:           8
        .value_kind:     global_buffer
      - .actual_access:  read_only
        .address_space:  global
        .offset:         24
        .size:           8
        .value_kind:     global_buffer
      - .offset:         32
        .size:           8
        .value_kind:     by_value
      - .actual_access:  read_only
        .address_space:  global
        .offset:         40
        .size:           8
        .value_kind:     global_buffer
      - .actual_access:  read_only
        .address_space:  global
        .offset:         48
        .size:           8
        .value_kind:     global_buffer
      - .offset:         56
        .size:           4
        .value_kind:     by_value
      - .actual_access:  read_only
        .address_space:  global
        .offset:         64
        .size:           8
        .value_kind:     global_buffer
      - .actual_access:  read_only
        .address_space:  global
        .offset:         72
        .size:           8
        .value_kind:     global_buffer
      - .address_space:  global
        .offset:         80
        .size:           8
        .value_kind:     global_buffer
    .group_segment_fixed_size: 0
    .kernarg_segment_align: 8
    .kernarg_segment_size: 88
    .language:       OpenCL C
    .language_version:
      - 2
      - 0
    .max_flat_workgroup_size: 234
    .name:           fft_rtc_fwd_len936_factors_2_2_13_2_3_3_wgs_234_tpt_78_halfLds_dp_ip_CI_unitstride_sbrr_R2C_dirReg
    .private_segment_fixed_size: 0
    .sgpr_count:     44
    .sgpr_spill_count: 0
    .symbol:         fft_rtc_fwd_len936_factors_2_2_13_2_3_3_wgs_234_tpt_78_halfLds_dp_ip_CI_unitstride_sbrr_R2C_dirReg.kd
    .uniform_work_group_size: 1
    .uses_dynamic_stack: false
    .vgpr_count:     226
    .vgpr_spill_count: 0
    .wavefront_size: 32
    .workgroup_processor_mode: 1
amdhsa.target:   amdgcn-amd-amdhsa--gfx1030
amdhsa.version:
  - 1
  - 2
...

	.end_amdgpu_metadata
